;; amdgpu-corpus repo=ROCm/rocFFT kind=compiled arch=gfx1201 opt=O3
	.text
	.amdgcn_target "amdgcn-amd-amdhsa--gfx1201"
	.amdhsa_code_object_version 6
	.protected	fft_rtc_fwd_len924_factors_2_2_3_7_11_wgs_44_tpt_44_halfLds_half_op_CI_CI_unitstride_sbrr_dirReg ; -- Begin function fft_rtc_fwd_len924_factors_2_2_3_7_11_wgs_44_tpt_44_halfLds_half_op_CI_CI_unitstride_sbrr_dirReg
	.globl	fft_rtc_fwd_len924_factors_2_2_3_7_11_wgs_44_tpt_44_halfLds_half_op_CI_CI_unitstride_sbrr_dirReg
	.p2align	8
	.type	fft_rtc_fwd_len924_factors_2_2_3_7_11_wgs_44_tpt_44_halfLds_half_op_CI_CI_unitstride_sbrr_dirReg,@function
fft_rtc_fwd_len924_factors_2_2_3_7_11_wgs_44_tpt_44_halfLds_half_op_CI_CI_unitstride_sbrr_dirReg: ; @fft_rtc_fwd_len924_factors_2_2_3_7_11_wgs_44_tpt_44_halfLds_half_op_CI_CI_unitstride_sbrr_dirReg
; %bb.0:
	s_clause 0x2
	s_load_b128 s[4:7], s[0:1], 0x0
	s_load_b128 s[8:11], s[0:1], 0x58
	;; [unrolled: 1-line block ×3, first 2 shown]
	v_mul_u32_u24_e32 v1, 0x5d2, v0
	v_mov_b32_e32 v3, 0
	s_delay_alu instid0(VALU_DEP_2) | instskip(NEXT) | instid1(VALU_DEP_1)
	v_lshrrev_b32_e32 v1, 16, v1
	v_add_nc_u32_e32 v5, ttmp9, v1
	v_mov_b32_e32 v1, 0
	v_mov_b32_e32 v2, 0
	;; [unrolled: 1-line block ×3, first 2 shown]
	s_wait_kmcnt 0x0
	v_cmp_lt_u64_e64 s2, s[6:7], 2
	s_delay_alu instid0(VALU_DEP_1)
	s_and_b32 vcc_lo, exec_lo, s2
	s_cbranch_vccnz .LBB0_8
; %bb.1:
	s_load_b64 s[2:3], s[0:1], 0x10
	v_mov_b32_e32 v1, 0
	v_mov_b32_e32 v2, 0
	s_add_nc_u64 s[16:17], s[14:15], 8
	s_add_nc_u64 s[18:19], s[12:13], 8
	s_mov_b64 s[20:21], 1
	s_delay_alu instid0(VALU_DEP_1)
	v_dual_mov_b32 v9, v2 :: v_dual_mov_b32 v8, v1
	s_wait_kmcnt 0x0
	s_add_nc_u64 s[22:23], s[2:3], 8
	s_mov_b32 s3, 0
.LBB0_2:                                ; =>This Inner Loop Header: Depth=1
	s_load_b64 s[24:25], s[22:23], 0x0
                                        ; implicit-def: $vgpr10_vgpr11
	s_mov_b32 s2, exec_lo
	s_wait_kmcnt 0x0
	v_or_b32_e32 v4, s25, v6
	s_delay_alu instid0(VALU_DEP_1)
	v_cmpx_ne_u64_e32 0, v[3:4]
	s_wait_alu 0xfffe
	s_xor_b32 s26, exec_lo, s2
	s_cbranch_execz .LBB0_4
; %bb.3:                                ;   in Loop: Header=BB0_2 Depth=1
	s_cvt_f32_u32 s2, s24
	s_cvt_f32_u32 s27, s25
	s_sub_nc_u64 s[30:31], 0, s[24:25]
	s_wait_alu 0xfffe
	s_delay_alu instid0(SALU_CYCLE_1) | instskip(SKIP_1) | instid1(SALU_CYCLE_2)
	s_fmamk_f32 s2, s27, 0x4f800000, s2
	s_wait_alu 0xfffe
	v_s_rcp_f32 s2, s2
	s_delay_alu instid0(TRANS32_DEP_1) | instskip(SKIP_1) | instid1(SALU_CYCLE_2)
	s_mul_f32 s2, s2, 0x5f7ffffc
	s_wait_alu 0xfffe
	s_mul_f32 s27, s2, 0x2f800000
	s_wait_alu 0xfffe
	s_delay_alu instid0(SALU_CYCLE_2) | instskip(SKIP_1) | instid1(SALU_CYCLE_2)
	s_trunc_f32 s27, s27
	s_wait_alu 0xfffe
	s_fmamk_f32 s2, s27, 0xcf800000, s2
	s_cvt_u32_f32 s29, s27
	s_wait_alu 0xfffe
	s_delay_alu instid0(SALU_CYCLE_1) | instskip(SKIP_1) | instid1(SALU_CYCLE_2)
	s_cvt_u32_f32 s28, s2
	s_wait_alu 0xfffe
	s_mul_u64 s[34:35], s[30:31], s[28:29]
	s_wait_alu 0xfffe
	s_mul_hi_u32 s37, s28, s35
	s_mul_i32 s36, s28, s35
	s_mul_hi_u32 s2, s28, s34
	s_mul_i32 s33, s29, s34
	s_wait_alu 0xfffe
	s_add_nc_u64 s[36:37], s[2:3], s[36:37]
	s_mul_hi_u32 s27, s29, s34
	s_mul_hi_u32 s38, s29, s35
	s_add_co_u32 s2, s36, s33
	s_wait_alu 0xfffe
	s_add_co_ci_u32 s2, s37, s27
	s_mul_i32 s34, s29, s35
	s_add_co_ci_u32 s35, s38, 0
	s_wait_alu 0xfffe
	s_add_nc_u64 s[34:35], s[2:3], s[34:35]
	s_wait_alu 0xfffe
	v_add_co_u32 v4, s2, s28, s34
	s_delay_alu instid0(VALU_DEP_1) | instskip(SKIP_1) | instid1(VALU_DEP_1)
	s_cmp_lg_u32 s2, 0
	s_add_co_ci_u32 s29, s29, s35
	v_readfirstlane_b32 s28, v4
	s_wait_alu 0xfffe
	s_delay_alu instid0(VALU_DEP_1)
	s_mul_u64 s[30:31], s[30:31], s[28:29]
	s_wait_alu 0xfffe
	s_mul_hi_u32 s35, s28, s31
	s_mul_i32 s34, s28, s31
	s_mul_hi_u32 s2, s28, s30
	s_mul_i32 s33, s29, s30
	s_wait_alu 0xfffe
	s_add_nc_u64 s[34:35], s[2:3], s[34:35]
	s_mul_hi_u32 s27, s29, s30
	s_mul_hi_u32 s28, s29, s31
	s_wait_alu 0xfffe
	s_add_co_u32 s2, s34, s33
	s_add_co_ci_u32 s2, s35, s27
	s_mul_i32 s30, s29, s31
	s_add_co_ci_u32 s31, s28, 0
	s_wait_alu 0xfffe
	s_add_nc_u64 s[30:31], s[2:3], s[30:31]
	s_wait_alu 0xfffe
	v_add_co_u32 v4, s2, v4, s30
	s_delay_alu instid0(VALU_DEP_1) | instskip(SKIP_1) | instid1(VALU_DEP_1)
	s_cmp_lg_u32 s2, 0
	s_add_co_ci_u32 s2, s29, s31
	v_mul_hi_u32 v7, v5, v4
	s_wait_alu 0xfffe
	v_mad_co_u64_u32 v[10:11], null, v5, s2, 0
	v_mad_co_u64_u32 v[12:13], null, v6, v4, 0
	;; [unrolled: 1-line block ×3, first 2 shown]
	s_delay_alu instid0(VALU_DEP_3) | instskip(SKIP_1) | instid1(VALU_DEP_4)
	v_add_co_u32 v4, vcc_lo, v7, v10
	s_wait_alu 0xfffd
	v_add_co_ci_u32_e32 v7, vcc_lo, 0, v11, vcc_lo
	s_delay_alu instid0(VALU_DEP_2) | instskip(SKIP_1) | instid1(VALU_DEP_2)
	v_add_co_u32 v4, vcc_lo, v4, v12
	s_wait_alu 0xfffd
	v_add_co_ci_u32_e32 v4, vcc_lo, v7, v13, vcc_lo
	s_wait_alu 0xfffd
	v_add_co_ci_u32_e32 v7, vcc_lo, 0, v15, vcc_lo
	s_delay_alu instid0(VALU_DEP_2) | instskip(SKIP_1) | instid1(VALU_DEP_2)
	v_add_co_u32 v4, vcc_lo, v4, v14
	s_wait_alu 0xfffd
	v_add_co_ci_u32_e32 v7, vcc_lo, 0, v7, vcc_lo
	s_delay_alu instid0(VALU_DEP_2) | instskip(SKIP_1) | instid1(VALU_DEP_3)
	v_mul_lo_u32 v12, s25, v4
	v_mad_co_u64_u32 v[10:11], null, s24, v4, 0
	v_mul_lo_u32 v13, s24, v7
	s_delay_alu instid0(VALU_DEP_2) | instskip(NEXT) | instid1(VALU_DEP_2)
	v_sub_co_u32 v10, vcc_lo, v5, v10
	v_add3_u32 v11, v11, v13, v12
	s_delay_alu instid0(VALU_DEP_1) | instskip(SKIP_1) | instid1(VALU_DEP_1)
	v_sub_nc_u32_e32 v12, v6, v11
	s_wait_alu 0xfffd
	v_subrev_co_ci_u32_e64 v12, s2, s25, v12, vcc_lo
	v_add_co_u32 v13, s2, v4, 2
	s_wait_alu 0xf1ff
	v_add_co_ci_u32_e64 v14, s2, 0, v7, s2
	v_sub_co_u32 v15, s2, v10, s24
	v_sub_co_ci_u32_e32 v11, vcc_lo, v6, v11, vcc_lo
	s_wait_alu 0xf1ff
	v_subrev_co_ci_u32_e64 v12, s2, 0, v12, s2
	s_delay_alu instid0(VALU_DEP_3) | instskip(NEXT) | instid1(VALU_DEP_3)
	v_cmp_le_u32_e32 vcc_lo, s24, v15
	v_cmp_eq_u32_e64 s2, s25, v11
	s_wait_alu 0xfffd
	v_cndmask_b32_e64 v15, 0, -1, vcc_lo
	v_cmp_le_u32_e32 vcc_lo, s25, v12
	s_wait_alu 0xfffd
	v_cndmask_b32_e64 v16, 0, -1, vcc_lo
	v_cmp_le_u32_e32 vcc_lo, s24, v10
	;; [unrolled: 3-line block ×3, first 2 shown]
	s_wait_alu 0xfffd
	v_cndmask_b32_e64 v17, 0, -1, vcc_lo
	v_cmp_eq_u32_e32 vcc_lo, s25, v12
	s_wait_alu 0xf1ff
	s_delay_alu instid0(VALU_DEP_2)
	v_cndmask_b32_e64 v10, v17, v10, s2
	s_wait_alu 0xfffd
	v_cndmask_b32_e32 v12, v16, v15, vcc_lo
	v_add_co_u32 v15, vcc_lo, v4, 1
	s_wait_alu 0xfffd
	v_add_co_ci_u32_e32 v16, vcc_lo, 0, v7, vcc_lo
	s_delay_alu instid0(VALU_DEP_3) | instskip(SKIP_1) | instid1(VALU_DEP_2)
	v_cmp_ne_u32_e32 vcc_lo, 0, v12
	s_wait_alu 0xfffd
	v_dual_cndmask_b32 v11, v16, v14 :: v_dual_cndmask_b32 v12, v15, v13
	v_cmp_ne_u32_e32 vcc_lo, 0, v10
	s_wait_alu 0xfffd
	s_delay_alu instid0(VALU_DEP_2)
	v_dual_cndmask_b32 v11, v7, v11 :: v_dual_cndmask_b32 v10, v4, v12
.LBB0_4:                                ;   in Loop: Header=BB0_2 Depth=1
	s_wait_alu 0xfffe
	s_and_not1_saveexec_b32 s2, s26
	s_cbranch_execz .LBB0_6
; %bb.5:                                ;   in Loop: Header=BB0_2 Depth=1
	v_cvt_f32_u32_e32 v4, s24
	s_sub_co_i32 s26, 0, s24
	s_delay_alu instid0(VALU_DEP_1) | instskip(NEXT) | instid1(TRANS32_DEP_1)
	v_rcp_iflag_f32_e32 v4, v4
	v_mul_f32_e32 v4, 0x4f7ffffe, v4
	s_delay_alu instid0(VALU_DEP_1) | instskip(SKIP_1) | instid1(VALU_DEP_1)
	v_cvt_u32_f32_e32 v4, v4
	s_wait_alu 0xfffe
	v_mul_lo_u32 v7, s26, v4
	s_delay_alu instid0(VALU_DEP_1) | instskip(NEXT) | instid1(VALU_DEP_1)
	v_mul_hi_u32 v7, v4, v7
	v_add_nc_u32_e32 v4, v4, v7
	s_delay_alu instid0(VALU_DEP_1) | instskip(NEXT) | instid1(VALU_DEP_1)
	v_mul_hi_u32 v4, v5, v4
	v_mul_lo_u32 v7, v4, s24
	v_add_nc_u32_e32 v10, 1, v4
	s_delay_alu instid0(VALU_DEP_2) | instskip(NEXT) | instid1(VALU_DEP_1)
	v_sub_nc_u32_e32 v7, v5, v7
	v_subrev_nc_u32_e32 v11, s24, v7
	v_cmp_le_u32_e32 vcc_lo, s24, v7
	s_wait_alu 0xfffd
	s_delay_alu instid0(VALU_DEP_2) | instskip(SKIP_1) | instid1(VALU_DEP_2)
	v_cndmask_b32_e32 v7, v7, v11, vcc_lo
	v_dual_mov_b32 v11, v3 :: v_dual_cndmask_b32 v4, v4, v10
	v_cmp_le_u32_e32 vcc_lo, s24, v7
	s_delay_alu instid0(VALU_DEP_2) | instskip(SKIP_1) | instid1(VALU_DEP_1)
	v_add_nc_u32_e32 v10, 1, v4
	s_wait_alu 0xfffd
	v_cndmask_b32_e32 v10, v4, v10, vcc_lo
.LBB0_6:                                ;   in Loop: Header=BB0_2 Depth=1
	s_wait_alu 0xfffe
	s_or_b32 exec_lo, exec_lo, s2
	v_mul_lo_u32 v4, v11, s24
	s_delay_alu instid0(VALU_DEP_2)
	v_mul_lo_u32 v7, v10, s25
	s_load_b64 s[26:27], s[18:19], 0x0
	v_mad_co_u64_u32 v[12:13], null, v10, s24, 0
	s_load_b64 s[24:25], s[16:17], 0x0
	s_add_nc_u64 s[20:21], s[20:21], 1
	s_add_nc_u64 s[16:17], s[16:17], 8
	s_wait_alu 0xfffe
	v_cmp_ge_u64_e64 s2, s[20:21], s[6:7]
	s_add_nc_u64 s[18:19], s[18:19], 8
	s_add_nc_u64 s[22:23], s[22:23], 8
	v_add3_u32 v4, v13, v7, v4
	v_sub_co_u32 v5, vcc_lo, v5, v12
	s_wait_alu 0xfffd
	s_delay_alu instid0(VALU_DEP_2) | instskip(SKIP_2) | instid1(VALU_DEP_1)
	v_sub_co_ci_u32_e32 v4, vcc_lo, v6, v4, vcc_lo
	s_and_b32 vcc_lo, exec_lo, s2
	s_wait_kmcnt 0x0
	v_mul_lo_u32 v6, s26, v4
	v_mul_lo_u32 v7, s27, v5
	v_mad_co_u64_u32 v[1:2], null, s26, v5, v[1:2]
	v_mul_lo_u32 v4, s24, v4
	v_mul_lo_u32 v12, s25, v5
	v_mad_co_u64_u32 v[8:9], null, s24, v5, v[8:9]
	s_delay_alu instid0(VALU_DEP_4) | instskip(NEXT) | instid1(VALU_DEP_2)
	v_add3_u32 v2, v7, v2, v6
	v_add3_u32 v9, v12, v9, v4
	s_wait_alu 0xfffe
	s_cbranch_vccnz .LBB0_9
; %bb.7:                                ;   in Loop: Header=BB0_2 Depth=1
	v_dual_mov_b32 v5, v10 :: v_dual_mov_b32 v6, v11
	s_branch .LBB0_2
.LBB0_8:
	v_dual_mov_b32 v9, v2 :: v_dual_mov_b32 v8, v1
	v_dual_mov_b32 v11, v6 :: v_dual_mov_b32 v10, v5
.LBB0_9:
	s_load_b64 s[0:1], s[0:1], 0x28
	v_mul_hi_u32 v40, 0x5d1745e, v0
	s_lshl_b64 s[6:7], s[6:7], 3
                                        ; implicit-def: $vgpr14
	s_wait_alu 0xfffe
	s_add_nc_u64 s[2:3], s[14:15], s[6:7]
                                        ; implicit-def: $sgpr14
	s_wait_kmcnt 0x0
	v_cmp_gt_u64_e32 vcc_lo, s[0:1], v[10:11]
	v_cmp_le_u64_e64 s0, s[0:1], v[10:11]
	s_delay_alu instid0(VALU_DEP_1)
	s_and_saveexec_b32 s1, s0
	s_wait_alu 0xfffe
	s_xor_b32 s0, exec_lo, s1
; %bb.10:
	v_mul_u32_u24_e32 v1, 44, v40
	s_mov_b32 s14, 0
                                        ; implicit-def: $vgpr40
	s_delay_alu instid0(VALU_DEP_1)
	v_sub_nc_u32_e32 v14, v0, v1
                                        ; implicit-def: $vgpr0
                                        ; implicit-def: $vgpr1_vgpr2
; %bb.11:
	s_wait_alu 0xfffe
	s_or_saveexec_b32 s1, s0
	s_load_b64 s[2:3], s[2:3], 0x0
	v_dual_mov_b32 v12, s14 :: v_dual_mov_b32 v3, s14
                                        ; implicit-def: $vgpr15
                                        ; implicit-def: $vgpr4
                                        ; implicit-def: $vgpr29
                                        ; implicit-def: $vgpr25
                                        ; implicit-def: $vgpr23
                                        ; implicit-def: $vgpr5
                                        ; implicit-def: $vgpr30
                                        ; implicit-def: $vgpr6
                                        ; implicit-def: $vgpr28
                                        ; implicit-def: $vgpr7
                                        ; implicit-def: $vgpr32
                                        ; implicit-def: $vgpr13
                                        ; implicit-def: $vgpr31
                                        ; implicit-def: $vgpr16
                                        ; implicit-def: $vgpr43
                                        ; implicit-def: $vgpr17
                                        ; implicit-def: $vgpr33
                                        ; implicit-def: $vgpr18
                                        ; implicit-def: $vgpr47
                                        ; implicit-def: $vgpr20
                                        ; implicit-def: $vgpr46
                                        ; implicit-def: $vgpr21
                                        ; implicit-def: $vgpr50
                                        ; implicit-def: $vgpr24
                                        ; implicit-def: $vgpr44
                                        ; implicit-def: $vgpr19
                                        ; implicit-def: $vgpr51
                                        ; implicit-def: $vgpr35
                                        ; implicit-def: $vgpr48
                                        ; implicit-def: $vgpr22
                                        ; implicit-def: $vgpr53
                                        ; implicit-def: $vgpr36
                                        ; implicit-def: $vgpr52
                                        ; implicit-def: $vgpr26
                                        ; implicit-def: $vgpr55
                                        ; implicit-def: $vgpr37
                                        ; implicit-def: $vgpr54
                                        ; implicit-def: $vgpr34
                                        ; implicit-def: $vgpr56
                                        ; implicit-def: $vgpr38
                                        ; implicit-def: $vgpr27
                                        ; implicit-def: $vgpr39
	s_xor_b32 exec_lo, exec_lo, s1
	s_cbranch_execz .LBB0_15
; %bb.12:
	s_add_nc_u64 s[6:7], s[12:13], s[6:7]
	v_lshlrev_b64_e32 v[1:2], 2, v[1:2]
	s_load_b64 s[6:7], s[6:7], 0x0
	v_mov_b32_e32 v12, 0
                                        ; implicit-def: $vgpr39
                                        ; implicit-def: $vgpr27
	s_wait_kmcnt 0x0
	v_mul_lo_u32 v5, s7, v10
	v_mul_lo_u32 v6, s6, v11
	v_mad_co_u64_u32 v[3:4], null, s6, v10, 0
	s_mov_b32 s6, exec_lo
	s_delay_alu instid0(VALU_DEP_1) | instskip(SKIP_1) | instid1(VALU_DEP_2)
	v_add3_u32 v4, v4, v6, v5
	v_mul_u32_u24_e32 v5, 44, v40
	v_lshlrev_b64_e32 v[3:4], 2, v[3:4]
	s_delay_alu instid0(VALU_DEP_2) | instskip(NEXT) | instid1(VALU_DEP_2)
	v_sub_nc_u32_e32 v14, v0, v5
	v_add_co_u32 v0, s0, s8, v3
	s_wait_alu 0xf1ff
	s_delay_alu instid0(VALU_DEP_3) | instskip(NEXT) | instid1(VALU_DEP_3)
	v_add_co_ci_u32_e64 v3, s0, s9, v4, s0
	v_lshlrev_b32_e32 v4, 2, v14
	s_delay_alu instid0(VALU_DEP_3) | instskip(SKIP_1) | instid1(VALU_DEP_3)
	v_add_co_u32 v0, s0, v0, v1
	s_wait_alu 0xf1ff
	v_add_co_ci_u32_e64 v1, s0, v3, v2, s0
	v_mov_b32_e32 v3, 0
	s_delay_alu instid0(VALU_DEP_3) | instskip(SKIP_1) | instid1(VALU_DEP_3)
	v_add_co_u32 v0, s0, v0, v4
	s_wait_alu 0xf1ff
	v_add_co_ci_u32_e64 v1, s0, 0, v1, s0
	s_clause 0x13
	global_load_b32 v6, v[0:1], off offset:2024
	global_load_b32 v13, v[0:1], off offset:2200
	;; [unrolled: 1-line block ×5, first 2 shown]
	global_load_b32 v4, v[0:1], off
	global_load_b32 v5, v[0:1], off offset:176
	global_load_b32 v7, v[0:1], off offset:352
	;; [unrolled: 1-line block ×14, first 2 shown]
	v_cmpx_gt_u32_e32 22, v14
	s_cbranch_execz .LBB0_14
; %bb.13:
	s_clause 0x1
	global_load_b32 v3, v[0:1], off offset:1760
	global_load_b32 v39, v[0:1], off offset:3608
	s_wait_loadcnt 0x1
	v_lshrrev_b32_e32 v12, 16, v3
	s_wait_loadcnt 0x0
	v_lshrrev_b32_e32 v27, 16, v39
.LBB0_14:
	s_wait_alu 0xfffe
	s_or_b32 exec_lo, exec_lo, s6
	s_wait_loadcnt 0xe
	v_lshrrev_b32_e32 v15, 16, v4
	s_wait_loadcnt 0x5
	v_lshrrev_b32_e32 v29, 16, v25
	v_lshrrev_b32_e32 v23, 16, v5
	;; [unrolled: 1-line block ×12, first 2 shown]
	s_wait_loadcnt 0x3
	v_lshrrev_b32_e32 v51, 16, v35
	v_lshrrev_b32_e32 v48, 16, v22
	s_wait_loadcnt 0x2
	v_lshrrev_b32_e32 v53, 16, v36
	v_lshrrev_b32_e32 v52, 16, v26
	;; [unrolled: 3-line block ×3, first 2 shown]
	s_wait_loadcnt 0x0
	v_lshrrev_b32_e32 v56, 16, v38
.LBB0_15:
	s_or_b32 exec_lo, exec_lo, s1
	v_sub_f16_e32 v2, v4, v25
	v_sub_f16_e32 v6, v5, v6
	;; [unrolled: 1-line block ×5, first 2 shown]
	v_fma_f16 v4, v4, 2.0, -v2
	v_fma_f16 v5, v5, 2.0, -v6
	v_sub_f16_e32 v20, v18, v20
	v_sub_f16_e32 v24, v21, v24
	v_fma_f16 v25, v7, 2.0, -v13
	v_fma_f16 v40, v16, 2.0, -v17
	v_sub_f16_e32 v35, v19, v35
	v_sub_f16_e32 v36, v22, v36
	;; [unrolled: 1-line block ×4, first 2 shown]
	v_add_nc_u32_e32 v16, 44, v14
	v_fma_f16 v1, v3, 2.0, -v0
	v_add_nc_u32_e32 v3, 0x58, v14
	v_pack_b32_f16 v2, v4, v2
	v_add_nc_u32_e32 v7, 0x84, v14
	v_pack_b32_f16 v39, v5, v6
	v_add_nc_u32_e32 v6, 0xb0, v14
	v_add_nc_u32_e32 v5, 0xdc, v14
	;; [unrolled: 1-line block ×7, first 2 shown]
	v_fma_f16 v18, v18, 2.0, -v20
	v_fma_f16 v21, v21, 2.0, -v24
	;; [unrolled: 1-line block ×6, first 2 shown]
	v_lshl_add_u32 v57, v14, 2, 0
	v_lshl_add_u32 v58, v16, 2, 0
	;; [unrolled: 1-line block ×10, first 2 shown]
	v_cmp_gt_u32_e64 s0, 22, v14
	v_lshl_add_u32 v69, v49, 2, 0
	v_pack_b32_f16 v13, v25, v13
	v_pack_b32_f16 v17, v40, v17
	;; [unrolled: 1-line block ×8, first 2 shown]
	ds_store_b32 v57, v2
	ds_store_b32 v58, v39
	;; [unrolled: 1-line block ×10, first 2 shown]
	s_and_saveexec_b32 s1, s0
	s_cbranch_execz .LBB0_17
; %bb.16:
	v_perm_b32 v2, v0, v1, 0x5040100
	ds_store_b32 v69, v2
.LBB0_17:
	s_wait_alu 0xfffe
	s_or_b32 exec_lo, exec_lo, s1
	v_lshl_add_u32 v2, v14, 1, 0
	global_wb scope:SCOPE_SE
	s_wait_dscnt 0x0
	s_wait_kmcnt 0x0
	s_barrier_signal -1
	s_barrier_wait -1
	global_inv scope:SCOPE_SE
	ds_load_u16 v22, v2 offset:1012
	ds_load_u16 v20, v2 offset:1100
	;; [unrolled: 1-line block ×5, first 2 shown]
	ds_load_u16 v34, v2
	ds_load_u16 v35, v2 offset:88
	ds_load_u16 v36, v2 offset:176
	;; [unrolled: 1-line block ×14, first 2 shown]
	s_and_saveexec_b32 s1, s0
	s_cbranch_execz .LBB0_19
; %bb.18:
	ds_load_u16 v1, v2 offset:880
	ds_load_u16 v0, v2 offset:1804
.LBB0_19:
	s_wait_alu 0xfffe
	s_or_b32 exec_lo, exec_lo, s1
	v_sub_f16_e32 v29, v15, v29
	v_sub_f16_e32 v30, v23, v30
	;; [unrolled: 1-line block ×5, first 2 shown]
	v_fma_f16 v15, v15, 2.0, -v29
	v_sub_f16_e32 v50, v46, v50
	v_sub_f16_e32 v51, v44, v51
	;; [unrolled: 1-line block ×6, first 2 shown]
	v_fma_f16 v71, v23, 2.0, -v30
	v_fma_f16 v28, v28, 2.0, -v32
	;; [unrolled: 1-line block ×10, first 2 shown]
	v_pack_b32_f16 v12, v15, v29
	v_pack_b32_f16 v15, v71, v30
	;; [unrolled: 1-line block ×5, first 2 shown]
	global_wb scope:SCOPE_SE
	s_wait_dscnt 0x0
	s_barrier_signal -1
	s_barrier_wait -1
	global_inv scope:SCOPE_SE
	v_pack_b32_f16 v31, v46, v50
	v_pack_b32_f16 v32, v44, v51
	;; [unrolled: 1-line block ×5, first 2 shown]
	ds_store_b32 v57, v12
	ds_store_b32 v58, v15
	;; [unrolled: 1-line block ×10, first 2 shown]
	s_and_saveexec_b32 s1, s0
	s_cbranch_execz .LBB0_21
; %bb.20:
	v_perm_b32 v12, v27, v23, 0x5040100
	ds_store_b32 v69, v12
.LBB0_21:
	s_wait_alu 0xfffe
	s_or_b32 exec_lo, exec_lo, s1
	global_wb scope:SCOPE_SE
	s_wait_dscnt 0x0
	s_barrier_signal -1
	s_barrier_wait -1
	global_inv scope:SCOPE_SE
	ds_load_u16 v48, v2 offset:1012
	ds_load_u16 v50, v2 offset:1100
	;; [unrolled: 1-line block ×5, first 2 shown]
	ds_load_u16 v33, v2
	ds_load_u16 v43, v2 offset:88
	ds_load_u16 v44, v2 offset:176
	;; [unrolled: 1-line block ×14, first 2 shown]
	v_lshlrev_b32_e32 v15, 1, v14
	v_lshlrev_b32_e32 v62, 1, v16
	;; [unrolled: 1-line block ×10, first 2 shown]
	s_and_saveexec_b32 s1, s0
	s_cbranch_execz .LBB0_23
; %bb.22:
	ds_load_u16 v23, v2 offset:880
	ds_load_u16 v27, v2 offset:1804
.LBB0_23:
	s_wait_alu 0xfffe
	s_or_b32 exec_lo, exec_lo, s1
	v_and_b32_e32 v28, 1, v14
	v_lshlrev_b32_e32 v49, 1, v49
	s_delay_alu instid0(VALU_DEP_2)
	v_lshlrev_b32_e32 v59, 2, v28
	v_and_or_b32 v63, 0x1fc, v63, v28
	v_and_or_b32 v70, 0x3fc, v66, v28
	;; [unrolled: 1-line block ×4, first 2 shown]
	global_load_b32 v59, v59, s[4:5]
	v_lshl_add_u32 v67, v63, 1, 0
	v_lshl_add_u32 v63, v70, 1, 0
	v_and_or_b32 v64, 0x1fc, v64, v28
	v_and_or_b32 v62, 0xfc, v62, v28
	;; [unrolled: 1-line block ×5, first 2 shown]
	v_lshl_add_u32 v69, v15, 1, 0
	v_lshl_add_u32 v66, v64, 1, 0
	;; [unrolled: 1-line block ×7, first 2 shown]
	v_and_or_b32 v65, 0x1fc, v65, v28
	global_wb scope:SCOPE_SE
	s_wait_loadcnt_dscnt 0x0
	s_barrier_signal -1
	s_barrier_wait -1
	global_inv scope:SCOPE_SE
	v_lshl_add_u32 v65, v65, 1, 0
	v_lshrrev_b32_e32 v70, 16, v59
	s_delay_alu instid0(VALU_DEP_1)
	v_mul_f16_e32 v15, v58, v70
	v_mul_f16_e32 v71, v48, v70
	v_mul_f16_e32 v72, v50, v70
	v_mul_f16_e32 v73, v51, v70
	v_mul_f16_e32 v74, v52, v70
	v_mul_f16_e32 v75, v53, v70
	v_mul_f16_e32 v76, v54, v70
	v_mul_f16_e32 v77, v55, v70
	v_mul_f16_e32 v78, v56, v70
	v_mul_f16_e32 v79, v57, v70
	v_mul_f16_e32 v80, v27, v70
	v_fma_f16 v15, v26, v59, -v15
	v_fma_f16 v71, v22, v59, -v71
	;; [unrolled: 1-line block ×11, first 2 shown]
	v_sub_f16_e32 v81, v34, v15
	v_sub_f16_e32 v71, v35, v71
	;; [unrolled: 1-line block ×11, first 2 shown]
	v_fma_f16 v34, v34, 2.0, -v81
	v_fma_f16 v35, v35, 2.0, -v71
	;; [unrolled: 1-line block ×10, first 2 shown]
	ds_store_b16 v69, v34
	ds_store_b16 v69, v81 offset:4
	ds_store_b16 v68, v35
	ds_store_b16 v68, v71 offset:4
	;; [unrolled: 2-line block ×10, first 2 shown]
	s_and_saveexec_b32 s1, s0
	s_cbranch_execz .LBB0_25
; %bb.24:
	v_and_or_b32 v34, 0x3fc, v49, v28
	v_fma_f16 v1, v1, 2.0, -v15
	s_delay_alu instid0(VALU_DEP_2)
	v_lshl_add_u32 v34, v34, 1, 0
	ds_store_b16 v34, v1
	ds_store_b16 v34, v15 offset:4
.LBB0_25:
	s_wait_alu 0xfffe
	s_or_b32 exec_lo, exec_lo, s1
	v_mul_f16_e32 v1, v26, v70
	v_mul_f16_e32 v22, v22, v70
	;; [unrolled: 1-line block ×9, first 2 shown]
	v_fmac_f16_e32 v1, v58, v59
	v_fmac_f16_e32 v22, v48, v59
	;; [unrolled: 1-line block ×3, first 2 shown]
	v_mul_f16_e32 v25, v25, v70
	v_fmac_f16_e32 v24, v55, v59
	v_fmac_f16_e32 v21, v56, v59
	;; [unrolled: 1-line block ×6, first 2 shown]
	v_mul_f16_e32 v0, v0, v70
	v_fmac_f16_e32 v25, v54, v59
	v_sub_f16_e32 v1, v33, v1
	v_sub_f16_e32 v26, v43, v22
	;; [unrolled: 1-line block ×6, first 2 shown]
	v_fmac_f16_e32 v0, v27, v59
	v_sub_f16_e32 v27, v44, v20
	v_sub_f16_e32 v45, v46, v19
	v_fma_f16 v50, v33, 2.0, -v1
	v_fma_f16 v51, v43, 2.0, -v26
	;; [unrolled: 1-line block ×6, first 2 shown]
	global_wb scope:SCOPE_SE
	s_wait_dscnt 0x0
	s_barrier_signal -1
	s_barrier_wait -1
	global_inv scope:SCOPE_SE
	ds_load_u16 v30, v2 offset:1320
	ds_load_u16 v21, v2
	ds_load_u16 v20, v2 offset:88
	ds_load_u16 v12, v2 offset:176
	;; [unrolled: 1-line block ×19, first 2 shown]
	v_sub_f16_e32 v48, v47, v17
	v_sub_f16_e32 v25, v29, v25
	;; [unrolled: 1-line block ×3, first 2 shown]
	v_fma_f16 v44, v44, 2.0, -v27
	v_fma_f16 v46, v46, 2.0, -v45
	;; [unrolled: 1-line block ×4, first 2 shown]
	global_wb scope:SCOPE_SE
	s_wait_dscnt 0x0
	s_barrier_signal -1
	s_barrier_wait -1
	global_inv scope:SCOPE_SE
	ds_store_b16 v69, v50
	ds_store_b16 v69, v1 offset:4
	ds_store_b16 v68, v51
	ds_store_b16 v68, v26 offset:4
	;; [unrolled: 2-line block ×10, first 2 shown]
	s_and_saveexec_b32 s1, s0
	s_cbranch_execz .LBB0_27
; %bb.26:
	v_and_or_b32 v0, 0x3fc, v49, v28
	v_fma_f16 v1, v23, 2.0, -v17
	s_delay_alu instid0(VALU_DEP_2)
	v_lshl_add_u32 v0, v0, 1, 0
	ds_store_b16 v0, v1
	ds_store_b16 v0, v17 offset:4
.LBB0_27:
	s_wait_alu 0xfffe
	s_or_b32 exec_lo, exec_lo, s1
	v_and_b32_e32 v52, 3, v14
	global_wb scope:SCOPE_SE
	s_wait_dscnt 0x0
	s_barrier_signal -1
	s_barrier_wait -1
	global_inv scope:SCOPE_SE
	v_lshlrev_b32_e32 v0, 3, v52
	v_and_b32_e32 v62, 0xff, v14
	v_lshrrev_b32_e32 v59, 2, v14
	v_lshrrev_b32_e32 v60, 2, v16
	;; [unrolled: 1-line block ×3, first 2 shown]
	global_load_b64 v[0:1], v0, s[4:5] offset:8
	ds_load_u16 v29, v2
	ds_load_u16 v28, v2 offset:88
	ds_load_u16 v27, v2 offset:176
	;; [unrolled: 1-line block ×20, first 2 shown]
	v_lshrrev_b32_e32 v7, 2, v7
	v_lshrrev_b32_e32 v6, 2, v6
	;; [unrolled: 1-line block ×4, first 2 shown]
	v_and_b32_e32 v63, 0xff, v16
	v_and_b32_e32 v64, 0xff, v3
	v_mul_lo_u16 v62, 0xab, v62
	v_mul_u32_u24_e32 v59, 12, v59
	v_mul_u32_u24_e32 v60, 12, v60
	;; [unrolled: 1-line block ×7, first 2 shown]
	v_mul_lo_u16 v63, 0xab, v63
	v_mul_lo_u16 v64, 0xab, v64
	v_lshrrev_b16 v62, 11, v62
	v_or_b32_e32 v59, v59, v52
	v_or_b32_e32 v60, v60, v52
	;; [unrolled: 1-line block ×7, first 2 shown]
	v_lshrrev_b16 v52, 11, v63
	v_lshrrev_b16 v63, 11, v64
	v_mul_lo_u16 v64, v62, 12
	v_lshl_add_u32 v59, v59, 1, 0
	v_lshl_add_u32 v60, v60, 1, 0
	v_mul_lo_u16 v65, v52, 12
	v_mul_lo_u16 v66, v63, 12
	v_sub_nc_u16 v64, v14, v64
	global_wb scope:SCOPE_SE
	s_wait_loadcnt_dscnt 0x0
	s_barrier_signal -1
	v_sub_nc_u16 v65, v16, v65
	v_sub_nc_u16 v3, v3, v66
	v_and_b32_e32 v64, 0xff, v64
	s_barrier_wait -1
	global_inv scope:SCOPE_SE
	v_and_b32_e32 v65, 0xff, v65
	v_and_b32_e32 v3, 0xff, v3
	v_mul_u32_u24_e32 v66, 6, v64
	v_lshl_add_u32 v61, v61, 1, 0
	v_lshl_add_u32 v7, v7, 1, 0
	v_mul_u32_u24_e32 v69, 6, v65
	v_lshl_add_u32 v6, v6, 1, 0
	v_lshl_add_u32 v5, v5, 1, 0
	;; [unrolled: 1-line block ×3, first 2 shown]
	v_lshlrev_b32_e32 v66, 2, v66
	v_cmp_gt_u32_e64 s0, 40, v14
	v_lshrrev_b32_e32 v67, 16, v0
	v_lshrrev_b32_e32 v68, 16, v1
	s_delay_alu instid0(VALU_DEP_2) | instskip(NEXT) | instid1(VALU_DEP_2)
	v_mul_f16_e32 v70, v54, v67
	v_mul_f16_e32 v72, v56, v68
	;; [unrolled: 1-line block ×27, first 2 shown]
	v_fma_f16 v42, v42, v0, -v70
	v_fma_f16 v43, v43, v1, -v72
	v_fmac_f16_e32 v71, v54, v0
	v_fmac_f16_e32 v73, v56, v1
	v_fma_f16 v39, v39, v0, -v74
	v_fma_f16 v30, v30, v1, -v76
	v_mul_f16_e32 v68, v34, v68
	v_fmac_f16_e32 v75, v53, v0
	v_fmac_f16_e32 v77, v55, v1
	v_fma_f16 v37, v37, v0, -v78
	v_fmac_f16_e32 v79, v50, v0
	v_fma_f16 v41, v41, v1, -v80
	;; [unrolled: 2-line block ×10, first 2 shown]
	v_add_f16_e32 v34, v42, v43
	v_add_f16_e32 v46, v71, v73
	;; [unrolled: 1-line block ×3, first 2 shown]
	v_fmac_f16_e32 v68, v47, v1
	v_add_f16_e32 v1, v21, v42
	v_sub_f16_e32 v44, v71, v73
	v_add_f16_e32 v45, v29, v71
	v_add_f16_e32 v51, v75, v77
	v_add_f16_e32 v54, v37, v41
	v_sub_f16_e32 v55, v79, v81
	v_add_f16_e32 v56, v27, v79
	v_add_f16_e32 v57, v79, v81
	;; [unrolled: 4-line block ×4, first 2 shown]
	v_add_f16_e32 v83, v31, v36
	v_add_f16_e32 v87, v91, v93
	;; [unrolled: 1-line block ×3, first 2 shown]
	v_fmac_f16_e32 v21, -0.5, v34
	v_add_f16_e32 v47, v20, v39
	v_sub_f16_e32 v42, v42, v43
	v_sub_f16_e32 v49, v75, v77
	v_fmac_f16_e32 v29, -0.5, v46
	v_fmac_f16_e32 v20, -0.5, v48
	v_add_f16_e32 v50, v28, v75
	v_sub_f16_e32 v39, v39, v30
	v_add_f16_e32 v53, v12, v37
	v_sub_f16_e32 v37, v37, v41
	v_add_f16_e32 v58, v13, v35
	v_sub_f16_e32 v35, v35, v40
	v_add_f16_e32 v75, v18, v33
	v_sub_f16_e32 v33, v33, v38
	v_add_f16_e32 v82, v19, v31
	v_sub_f16_e32 v84, v91, v93
	v_add_f16_e32 v86, v23, v91
	v_sub_f16_e32 v31, v31, v36
	v_add_f16_e32 v88, v22, v32
	v_sub_f16_e32 v91, v67, v68
	v_add_f16_e32 v92, v26, v67
	v_add_f16_e32 v67, v67, v68
	;; [unrolled: 1-line block ×3, first 2 shown]
	v_fmac_f16_e32 v28, -0.5, v51
	v_fmac_f16_e32 v12, -0.5, v54
	;; [unrolled: 1-line block ×10, first 2 shown]
	v_fmamk_f16 v51, v44, 0x3aee, v21
	v_fmac_f16_e32 v21, 0xbaee, v44
	v_add_f16_e32 v30, v47, v30
	v_fmamk_f16 v44, v42, 0xbaee, v29
	v_fmac_f16_e32 v29, 0x3aee, v42
	v_fmamk_f16 v42, v49, 0x3aee, v20
	v_sub_f16_e32 v32, v32, v0
	v_add_f16_e32 v34, v45, v73
	v_add_f16_e32 v41, v53, v41
	;; [unrolled: 1-line block ×7, first 2 shown]
	v_fmac_f16_e32 v26, -0.5, v67
	v_fmac_f16_e32 v20, 0xbaee, v49
	v_fmamk_f16 v49, v39, 0xbaee, v28
	v_fmac_f16_e32 v28, 0x3aee, v39
	v_fmamk_f16 v39, v55, 0x3aee, v12
	;; [unrolled: 2-line block ×10, first 2 shown]
	v_fmac_f16_e32 v22, 0xbaee, v91
	ds_store_b16 v59, v1
	ds_store_b16 v59, v51 offset:8
	ds_store_b16 v59, v21 offset:16
	ds_store_b16 v60, v30
	ds_store_b16 v60, v42 offset:8
	ds_store_b16 v60, v20 offset:16
	;; [unrolled: 3-line block ×7, first 2 shown]
	v_mul_u32_u24_e32 v1, 6, v3
	v_lshlrev_b32_e32 v0, 2, v69
	v_add_f16_e32 v43, v50, v77
	v_add_f16_e32 v46, v72, v85
	;; [unrolled: 1-line block ×5, first 2 shown]
	v_fmamk_f16 v57, v32, 0xbaee, v26
	v_fmac_f16_e32 v26, 0x3aee, v32
	global_wb scope:SCOPE_SE
	s_wait_dscnt 0x0
	s_barrier_signal -1
	s_barrier_wait -1
	global_inv scope:SCOPE_SE
	ds_load_u16 v72, v2
	ds_load_u16 v73, v2 offset:88
	ds_load_u16 v36, v2 offset:1408
	;; [unrolled: 1-line block ×20, first 2 shown]
	global_wb scope:SCOPE_SE
	s_wait_dscnt 0x0
	s_barrier_signal -1
	s_barrier_wait -1
	global_inv scope:SCOPE_SE
	ds_store_b16 v59, v34
	ds_store_b16 v59, v44 offset:8
	ds_store_b16 v59, v29 offset:16
	ds_store_b16 v60, v43
	ds_store_b16 v60, v49 offset:8
	ds_store_b16 v60, v28 offset:16
	;; [unrolled: 3-line block ×7, first 2 shown]
	global_wb scope:SCOPE_SE
	s_wait_dscnt 0x0
	s_barrier_signal -1
	s_barrier_wait -1
	global_inv scope:SCOPE_SE
	global_load_b128 v[21:24], v66, s[4:5] offset:40
	v_lshlrev_b32_e32 v1, 2, v1
	s_clause 0x4
	global_load_b64 v[18:19], v66, s[4:5] offset:56
	global_load_b128 v[25:28], v0, s[4:5] offset:40
	global_load_b64 v[34:35], v0, s[4:5] offset:56
	global_load_b128 v[38:41], v1, s[4:5] offset:40
	global_load_b64 v[42:43], v1, s[4:5] offset:56
	v_and_b32_e32 v0, 0xffff, v62
	v_and_b32_e32 v4, 0xffff, v63
	v_lshlrev_b32_e32 v5, 1, v64
	v_lshlrev_b32_e32 v7, 1, v3
	v_and_b32_e32 v1, 0xffff, v52
	v_mul_u32_u24_e32 v0, 0xa8, v0
	v_mul_u32_u24_e32 v4, 0xa8, v4
	v_lshlrev_b32_e32 v6, 1, v65
	s_delay_alu instid0(VALU_DEP_4) | instskip(NEXT) | instid1(VALU_DEP_4)
	v_mul_u32_u24_e32 v1, 0xa8, v1
	v_add3_u32 v3, 0, v0, v5
	s_delay_alu instid0(VALU_DEP_4)
	v_add3_u32 v0, 0, v4, v7
	ds_load_u16 v7, v2
	ds_load_u16 v5, v2 offset:88
	ds_load_u16 v44, v2 offset:1408
	;; [unrolled: 1-line block ×20, first 2 shown]
	global_wb scope:SCOPE_SE
	s_wait_loadcnt_dscnt 0x0
	v_add3_u32 v1, 0, v1, v6
	s_barrier_signal -1
	s_barrier_wait -1
	global_inv scope:SCOPE_SE
	v_lshrrev_b32_e32 v6, 16, v21
	v_lshrrev_b32_e32 v12, 16, v22
	;; [unrolled: 1-line block ×18, first 2 shown]
	v_mul_f16_e32 v96, v49, v6
	v_mul_f16_e32 v97, v46, v12
	v_mul_f16_e32 v99, v59, v20
	v_mul_f16_e32 v100, v50, v29
	v_mul_f16_e32 v101, v65, v30
	v_mul_f16_e32 v55, v67, v6
	v_mul_f16_e32 v56, v68, v12
	v_mul_f16_e32 v98, v60, v13
	v_mul_f16_e32 v54, v81, v13
	v_mul_f16_e32 v57, v71, v20
	v_mul_f16_e32 v62, v70, v29
	v_mul_f16_e32 v64, v85, v30
	v_mul_f16_e32 v102, v48, v31
	v_mul_f16_e32 v20, v75, v31
	v_mul_f16_e32 v103, v45, v32
	v_mul_f16_e32 v32, v58, v32
	v_mul_f16_e32 v104, v61, v33
	v_mul_f16_e32 v33, v80, v33
	v_mul_f16_e32 v105, v63, v37
	v_mul_f16_e32 v37, v78, v37
	v_mul_f16_e32 v106, v44, v51
	v_mul_f16_e32 v51, v36, v51
	v_mul_f16_e32 v107, v90, v53
	v_mul_f16_e32 v53, v84, v53
	v_mul_f16_e32 v108, v47, v66
	v_mul_f16_e32 v109, v88, v69
	v_mul_f16_e32 v110, v87, v92
	v_mul_f16_e32 v13, v79, v92
	v_mul_f16_e32 v92, v52, v93
	v_mul_f16_e32 v29, v77, v93
	v_mul_f16_e32 v93, v91, v94
	v_mul_f16_e32 v30, v86, v94
	v_mul_f16_e32 v94, v89, v95
	v_mul_f16_e32 v6, v74, v66
	v_mul_f16_e32 v12, v82, v69
	v_fma_f16 v67, v67, v21, -v96
	v_fma_f16 v66, v68, v22, -v97
	;; [unrolled: 1-line block ×5, first 2 shown]
	v_mul_f16_e32 v31, v83, v95
	v_fmac_f16_e32 v55, v49, v21
	v_fmac_f16_e32 v56, v46, v22
	v_fma_f16 v68, v81, v23, -v98
	v_fmac_f16_e32 v54, v60, v23
	v_fmac_f16_e32 v57, v59, v24
	;; [unrolled: 1-line block ×4, first 2 shown]
	v_fma_f16 v59, v75, v25, -v102
	v_fmac_f16_e32 v20, v48, v25
	v_fma_f16 v58, v58, v26, -v103
	v_fmac_f16_e32 v32, v45, v26
	v_fmac_f16_e32 v33, v61, v27
	;; [unrolled: 1-line block ×3, first 2 shown]
	v_fma_f16 v63, v36, v34, -v106
	v_fmac_f16_e32 v51, v44, v34
	v_fma_f16 v65, v84, v35, -v107
	v_fmac_f16_e32 v53, v90, v35
	v_fma_f16 v35, v74, v38, -v108
	v_fma_f16 v34, v82, v39, -v109
	;; [unrolled: 1-line block ×3, first 2 shown]
	v_fmac_f16_e32 v13, v87, v40
	v_fmac_f16_e32 v29, v52, v41
	v_fma_f16 v40, v86, v42, -v93
	v_fma_f16 v52, v83, v43, -v94
	v_add_f16_e32 v18, v67, v71
	v_add_f16_e32 v21, v66, v70
	v_fmac_f16_e32 v6, v47, v38
	v_fmac_f16_e32 v12, v88, v39
	;; [unrolled: 1-line block ×4, first 2 shown]
	v_fma_f16 v60, v80, v27, -v104
	v_fma_f16 v61, v78, v28, -v105
	;; [unrolled: 1-line block ×3, first 2 shown]
	v_sub_f16_e32 v19, v55, v64
	v_sub_f16_e32 v22, v56, v62
	v_add_f16_e32 v23, v68, v69
	v_sub_f16_e32 v24, v57, v54
	v_add_f16_e32 v25, v59, v65
	v_sub_f16_e32 v26, v20, v53
	v_add_f16_e32 v27, v58, v63
	v_sub_f16_e32 v28, v32, v51
	v_sub_f16_e32 v41, v37, v33
	v_add_f16_e32 v42, v35, v52
	v_add_f16_e32 v44, v34, v40
	;; [unrolled: 1-line block ×3, first 2 shown]
	v_sub_f16_e32 v43, v6, v31
	v_sub_f16_e32 v45, v12, v30
	;; [unrolled: 1-line block ×3, first 2 shown]
	v_add_f16_e32 v38, v60, v61
	v_add_f16_e32 v46, v36, v39
	v_sub_f16_e32 v49, v21, v18
	v_sub_f16_e32 v18, v18, v23
	;; [unrolled: 1-line block ×3, first 2 shown]
	v_add_f16_e32 v50, v24, v22
	v_sub_f16_e32 v74, v24, v22
	v_sub_f16_e32 v22, v22, v19
	v_add_f16_e32 v75, v27, v25
	v_add_f16_e32 v78, v41, v28
	v_sub_f16_e32 v79, v41, v28
	v_sub_f16_e32 v28, v28, v26
	v_add_f16_e32 v80, v44, v42
	v_add_f16_e32 v23, v23, v48
	;; [unrolled: 1-line block ×3, first 2 shown]
	v_sub_f16_e32 v83, v47, v45
	v_sub_f16_e32 v45, v45, v43
	;; [unrolled: 1-line block ×10, first 2 shown]
	v_add_f16_e32 v48, v50, v19
	v_mul_f16_e32 v18, 0x3a52, v18
	v_mul_f16_e32 v19, 0x2b26, v21
	;; [unrolled: 1-line block ×4, first 2 shown]
	v_add_f16_e32 v38, v38, v75
	v_add_f16_e32 v26, v78, v26
	v_mul_f16_e32 v78, 0xb846, v79
	v_mul_f16_e32 v79, 0x3b00, v28
	v_add_f16_e32 v46, v46, v80
	v_add_f16_e32 v72, v72, v23
	v_sub_f16_e32 v47, v43, v47
	v_add_f16_e32 v43, v82, v43
	v_mul_f16_e32 v82, 0xb846, v83
	v_mul_f16_e32 v83, 0x3b00, v45
	;; [unrolled: 1-line block ×6, first 2 shown]
	v_fmamk_f16 v21, v21, 0x2b26, v18
	v_fma_f16 v84, v49, 0x39e0, -v19
	v_fma_f16 v18, v49, 0xb9e0, -v18
	v_fmamk_f16 v49, v24, 0x3574, v50
	v_fma_f16 v22, v22, 0x3b00, -v50
	v_fma_f16 v24, v24, 0xb574, -v74
	v_add_f16_e32 v50, v73, v38
	v_fmamk_f16 v74, v41, 0x3574, v78
	v_fma_f16 v28, v28, 0x3b00, -v78
	v_fma_f16 v41, v41, 0xb574, -v79
	v_add_f16_e32 v19, v76, v46
	v_fmamk_f16 v23, v23, 0xbcab, v72
	v_fmamk_f16 v76, v47, 0x3574, v82
	v_fma_f16 v45, v45, 0x3b00, -v82
	v_fma_f16 v47, v47, 0xb574, -v83
	v_fmamk_f16 v27, v27, 0x2b26, v25
	v_fma_f16 v73, v77, 0x39e0, -v75
	v_fma_f16 v25, v77, 0xb9e0, -v25
	;; [unrolled: 3-line block ×3, first 2 shown]
	v_fmamk_f16 v38, v38, 0xbcab, v50
	v_fmac_f16_e32 v74, 0x370e, v26
	v_fmac_f16_e32 v28, 0x370e, v26
	;; [unrolled: 1-line block ×3, first 2 shown]
	v_fmamk_f16 v26, v46, 0xbcab, v19
	v_fmac_f16_e32 v49, 0x370e, v48
	v_add_f16_e32 v21, v21, v23
	v_fmac_f16_e32 v24, 0x370e, v48
	v_add_f16_e32 v18, v18, v23
	v_fmac_f16_e32 v22, 0x370e, v48
	v_fmac_f16_e32 v76, 0x370e, v43
	;; [unrolled: 1-line block ×4, first 2 shown]
	v_add_f16_e32 v43, v84, v23
	v_add_f16_e32 v23, v27, v38
	;; [unrolled: 1-line block ×9, first 2 shown]
	v_sub_f16_e32 v48, v43, v22
	v_add_f16_e32 v43, v22, v43
	v_sub_f16_e32 v49, v21, v49
	v_sub_f16_e32 v73, v18, v24
	v_add_f16_e32 v75, v74, v23
	v_add_f16_e32 v77, v41, v25
	v_sub_f16_e32 v78, v27, v28
	v_add_f16_e32 v18, v28, v27
	v_sub_f16_e32 v27, v25, v41
	v_sub_f16_e32 v28, v23, v74
	v_add_f16_e32 v21, v76, v38
	v_add_f16_e32 v22, v47, v26
	v_sub_f16_e32 v23, v44, v45
	v_add_f16_e32 v24, v45, v44
	v_sub_f16_e32 v25, v26, v47
	v_sub_f16_e32 v26, v38, v76
	ds_store_b16 v3, v72
	ds_store_b16 v3, v42 offset:24
	ds_store_b16 v3, v46 offset:48
	ds_store_b16 v3, v48 offset:72
	ds_store_b16 v3, v43 offset:96
	ds_store_b16 v3, v73 offset:120
	ds_store_b16 v3, v49 offset:144
	ds_store_b16 v1, v50
	ds_store_b16 v1, v75 offset:24
	ds_store_b16 v1, v77 offset:48
	ds_store_b16 v1, v78 offset:72
	ds_store_b16 v1, v18 offset:96
	ds_store_b16 v1, v27 offset:120
	ds_store_b16 v1, v28 offset:144
	;; [unrolled: 7-line block ×3, first 2 shown]
	global_wb scope:SCOPE_SE
	s_wait_dscnt 0x0
	s_barrier_signal -1
	s_barrier_wait -1
	global_inv scope:SCOPE_SE
	ds_load_u16 v38, v2
	ds_load_u16 v47, v2 offset:168
	ds_load_u16 v46, v2 offset:336
	;; [unrolled: 1-line block ×10, first 2 shown]
	s_and_saveexec_b32 s1, s0
	s_cbranch_execz .LBB0_29
; %bb.28:
	ds_load_u16 v18, v2 offset:88
	ds_load_u16 v27, v2 offset:256
	;; [unrolled: 1-line block ×11, first 2 shown]
.LBB0_29:
	s_wait_alu 0xfffe
	s_or_b32 exec_lo, exec_lo, s1
	v_add_f16_e32 v20, v20, v53
	v_add_f16_e32 v32, v32, v51
	;; [unrolled: 1-line block ×3, first 2 shown]
	v_sub_f16_e32 v37, v58, v63
	v_sub_f16_e32 v53, v61, v60
	;; [unrolled: 1-line block ×3, first 2 shown]
	v_add_f16_e32 v58, v32, v20
	v_sub_f16_e32 v59, v32, v20
	v_sub_f16_e32 v20, v20, v33
	;; [unrolled: 1-line block ×3, first 2 shown]
	v_add_f16_e32 v60, v53, v37
	v_add_f16_e32 v33, v33, v58
	v_sub_f16_e32 v58, v53, v37
	v_sub_f16_e32 v53, v51, v53
	;; [unrolled: 1-line block ×3, first 2 shown]
	v_add_f16_e32 v51, v60, v51
	v_add_f16_e32 v5, v5, v33
	v_mul_f16_e32 v60, 0x2b26, v32
	v_mul_f16_e32 v58, 0xb846, v58
	v_add_f16_e32 v55, v55, v64
	v_add_f16_e32 v56, v56, v62
	v_mul_f16_e32 v20, 0x3a52, v20
	v_mul_f16_e32 v61, 0x3b00, v37
	v_fmamk_f16 v33, v33, 0xbcab, v5
	v_fma_f16 v60, v59, 0x39e0, -v60
	v_fma_f16 v37, v37, 0x3b00, -v58
	v_add_f16_e32 v6, v6, v31
	v_add_f16_e32 v12, v12, v30
	;; [unrolled: 1-line block ×3, first 2 shown]
	v_sub_f16_e32 v57, v66, v70
	v_sub_f16_e32 v64, v69, v68
	v_add_f16_e32 v66, v56, v55
	v_sub_f16_e32 v62, v67, v71
	v_fmamk_f16 v32, v32, 0x2b26, v20
	v_fma_f16 v20, v59, 0xb9e0, -v20
	v_fmamk_f16 v59, v53, 0x3574, v58
	v_add_f16_e32 v58, v60, v33
	v_fmac_f16_e32 v37, 0x370e, v51
	v_sub_f16_e32 v30, v35, v52
	v_add_f16_e32 v13, v13, v29
	v_sub_f16_e32 v29, v34, v40
	v_sub_f16_e32 v31, v39, v36
	v_add_f16_e32 v34, v12, v6
	v_sub_f16_e32 v67, v56, v55
	v_sub_f16_e32 v55, v55, v54
	;; [unrolled: 1-line block ×3, first 2 shown]
	v_add_f16_e32 v68, v64, v57
	v_add_f16_e32 v54, v54, v66
	v_sub_f16_e32 v66, v64, v57
	v_sub_f16_e32 v57, v57, v62
	v_fma_f16 v53, v53, 0xb574, -v61
	v_add_f16_e32 v32, v32, v33
	v_add_f16_e32 v33, v20, v33
	;; [unrolled: 1-line block ×3, first 2 shown]
	v_sub_f16_e32 v20, v58, v37
	v_sub_f16_e32 v35, v12, v6
	;; [unrolled: 1-line block ×4, first 2 shown]
	v_add_f16_e32 v36, v31, v29
	v_add_f16_e32 v13, v13, v34
	v_sub_f16_e32 v34, v31, v29
	v_sub_f16_e32 v37, v29, v30
	;; [unrolled: 1-line block ×3, first 2 shown]
	v_add_f16_e32 v62, v68, v62
	v_add_f16_e32 v7, v7, v54
	v_mul_f16_e32 v55, 0x3a52, v55
	v_mul_f16_e32 v68, 0x2b26, v56
	;; [unrolled: 1-line block ×4, first 2 shown]
	v_sub_f16_e32 v31, v30, v31
	v_add_f16_e32 v30, v36, v30
	v_add_f16_e32 v29, v4, v13
	v_mul_f16_e32 v4, 0x3a52, v6
	v_mul_f16_e32 v6, 0x2b26, v12
	;; [unrolled: 1-line block ×4, first 2 shown]
	v_fmamk_f16 v54, v54, 0xbcab, v7
	v_fmamk_f16 v56, v56, 0x2b26, v55
	v_fma_f16 v68, v67, 0x39e0, -v68
	v_fma_f16 v55, v67, 0xb9e0, -v55
	v_fmamk_f16 v67, v64, 0x3574, v66
	v_fma_f16 v64, v64, 0xb574, -v69
	v_fma_f16 v57, v57, 0x3b00, -v66
	v_fmamk_f16 v13, v13, 0xbcab, v29
	v_fmamk_f16 v12, v12, 0x2b26, v4
	v_fma_f16 v6, v35, 0x39e0, -v6
	v_fma_f16 v4, v35, 0xb9e0, -v4
	v_fmamk_f16 v39, v31, 0x3574, v34
	v_fma_f16 v34, v37, 0x3b00, -v34
	v_fma_f16 v35, v31, 0xb574, -v36
	v_add_f16_e32 v56, v56, v54
	v_fmac_f16_e32 v67, 0x370e, v62
	v_add_f16_e32 v66, v68, v54
	v_add_f16_e32 v54, v55, v54
	v_fmac_f16_e32 v64, 0x370e, v62
	v_fmac_f16_e32 v57, 0x370e, v62
	;; [unrolled: 1-line block ×4, first 2 shown]
	v_add_f16_e32 v12, v12, v13
	v_add_f16_e32 v6, v6, v13
	;; [unrolled: 1-line block ×3, first 2 shown]
	v_fmac_f16_e32 v39, 0x370e, v30
	v_fmac_f16_e32 v35, 0x370e, v30
	;; [unrolled: 1-line block ×3, first 2 shown]
	v_sub_f16_e32 v55, v56, v67
	v_sub_f16_e32 v62, v54, v64
	v_add_f16_e32 v68, v57, v66
	v_sub_f16_e32 v57, v66, v57
	v_add_f16_e32 v51, v64, v54
	v_add_f16_e32 v54, v67, v56
	v_sub_f16_e32 v56, v32, v59
	v_sub_f16_e32 v60, v33, v53
	v_add_f16_e32 v36, v53, v33
	v_add_f16_e32 v37, v59, v32
	v_sub_f16_e32 v31, v12, v39
	v_sub_f16_e32 v32, v4, v35
	v_add_f16_e32 v33, v34, v6
	v_sub_f16_e32 v34, v6, v34
	v_add_f16_e32 v35, v35, v4
	v_add_f16_e32 v30, v39, v12
	global_wb scope:SCOPE_SE
	s_wait_dscnt 0x0
	s_barrier_signal -1
	s_barrier_wait -1
	global_inv scope:SCOPE_SE
	ds_store_b16 v3, v7
	ds_store_b16 v3, v55 offset:24
	ds_store_b16 v3, v62 offset:48
	ds_store_b16 v3, v68 offset:72
	ds_store_b16 v3, v57 offset:96
	ds_store_b16 v3, v51 offset:120
	ds_store_b16 v3, v54 offset:144
	ds_store_b16 v1, v5
	ds_store_b16 v1, v56 offset:24
	ds_store_b16 v1, v60 offset:48
	ds_store_b16 v1, v61 offset:72
	ds_store_b16 v1, v20 offset:96
	ds_store_b16 v1, v36 offset:120
	ds_store_b16 v1, v37 offset:144
	;; [unrolled: 7-line block ×3, first 2 shown]
	global_wb scope:SCOPE_SE
	s_wait_dscnt 0x0
	s_barrier_signal -1
	s_barrier_wait -1
	global_inv scope:SCOPE_SE
	ds_load_u16 v51, v2
	ds_load_u16 v59, v2 offset:168
	ds_load_u16 v57, v2 offset:336
	;; [unrolled: 1-line block ×10, first 2 shown]
	s_and_saveexec_b32 s1, s0
	s_cbranch_execz .LBB0_31
; %bb.30:
	ds_load_u16 v20, v2 offset:88
	ds_load_u16 v36, v2 offset:256
	;; [unrolled: 1-line block ×11, first 2 shown]
.LBB0_31:
	s_wait_alu 0xfffe
	s_or_b32 exec_lo, exec_lo, s1
	s_and_saveexec_b32 s1, vcc_lo
	s_cbranch_execz .LBB0_34
; %bb.32:
	v_mul_u32_u24_e32 v0, 10, v14
	v_lshrrev_b32_e32 v39, 2, v14
	v_mul_lo_u32 v40, s3, v10
	v_mul_lo_u32 v62, s2, v11
	v_mad_co_u64_u32 v[10:11], null, s2, v10, 0
	v_lshlrev_b32_e32 v4, 2, v0
	v_mul_hi_u32 v39, 0x30c30c31, v39
	v_lshlrev_b64_e32 v[8:9], 2, v[8:9]
	s_clause 0x2
	global_load_b64 v[12:13], v4, s[4:5] offset:360
	global_load_b128 v[0:3], v4, s[4:5] offset:328
	global_load_b128 v[4:7], v4, s[4:5] offset:344
	v_add3_u32 v11, v11, v62, v40
	v_lshrrev_b32_e32 v39, 2, v39
	s_delay_alu instid0(VALU_DEP_1) | instskip(NEXT) | instid1(VALU_DEP_3)
	v_mul_lo_u32 v62, 0x54, v39
	v_lshlrev_b64_e32 v[39:40], 2, v[10:11]
	v_add_nc_u32_e32 v10, 44, v14
	s_delay_alu instid0(VALU_DEP_2) | instskip(NEXT) | instid1(VALU_DEP_4)
	v_add_co_u32 v39, vcc_lo, s10, v39
	v_sub_nc_u32_e32 v11, v14, v62
	s_wait_alu 0xfffd
	s_delay_alu instid0(VALU_DEP_4) | instskip(NEXT) | instid1(VALU_DEP_3)
	v_add_co_ci_u32_e32 v40, vcc_lo, s11, v40, vcc_lo
	v_add_co_u32 v39, vcc_lo, v39, v8
	s_delay_alu instid0(VALU_DEP_3) | instskip(SKIP_1) | instid1(VALU_DEP_3)
	v_lshlrev_b32_e32 v11, 2, v11
	s_wait_alu 0xfffd
	v_add_co_ci_u32_e32 v40, vcc_lo, v40, v9, vcc_lo
	v_cmp_gt_u32_e32 vcc_lo, 0x54, v10
	s_delay_alu instid0(VALU_DEP_3) | instskip(SKIP_1) | instid1(VALU_DEP_3)
	v_add_co_u32 v8, s1, v39, v11
	s_wait_alu 0xf1fe
	v_add_co_ci_u32_e64 v9, s1, 0, v40, s1
	s_wait_loadcnt 0x2
	v_lshrrev_b32_e32 v62, 16, v13
	s_wait_loadcnt 0x1
	v_lshrrev_b32_e32 v64, 16, v0
	v_lshrrev_b32_e32 v11, 16, v12
	s_wait_dscnt 0x0
	v_mul_f16_e32 v63, v61, v13
	v_lshrrev_b32_e32 v65, 16, v1
	v_mul_f16_e32 v68, v59, v0
	v_mul_f16_e32 v69, v60, v12
	s_wait_loadcnt 0x0
	v_lshrrev_b32_e32 v71, 16, v4
	v_mul_f16_e32 v59, v59, v64
	v_mul_f16_e32 v61, v61, v62
	v_lshrrev_b32_e32 v66, 16, v2
	v_lshrrev_b32_e32 v67, 16, v3
	v_mul_f16_e32 v70, v57, v1
	v_lshrrev_b32_e32 v72, 16, v5
	v_lshrrev_b32_e32 v73, 16, v6
	;; [unrolled: 1-line block ×3, first 2 shown]
	v_mul_f16_e32 v75, v58, v7
	v_mul_f16_e32 v76, v56, v2
	;; [unrolled: 1-line block ×6, first 2 shown]
	v_fmac_f16_e32 v68, v47, v64
	v_fmac_f16_e32 v69, v49, v11
	v_mul_f16_e32 v57, v57, v65
	v_mul_f16_e32 v11, v60, v11
	;; [unrolled: 1-line block ×3, first 2 shown]
	v_fma_f16 v0, v47, v0, -v59
	v_fma_f16 v13, v50, v13, -v61
	v_fmac_f16_e32 v63, v50, v62
	v_fmac_f16_e32 v70, v46, v65
	;; [unrolled: 1-line block ×4, first 2 shown]
	v_mul_f16_e32 v56, v56, v66
	v_mul_f16_e32 v58, v58, v74
	v_fmac_f16_e32 v77, v45, v73
	v_fmac_f16_e32 v78, v43, v67
	v_mul_f16_e32 v54, v54, v67
	v_mul_f16_e32 v55, v55, v73
	v_fmac_f16_e32 v79, v42, v72
	v_fmac_f16_e32 v80, v41, v71
	v_mul_f16_e32 v53, v53, v72
	v_fma_f16 v1, v46, v1, -v57
	v_fma_f16 v11, v49, v12, -v11
	;; [unrolled: 1-line block ×3, first 2 shown]
	v_add_f16_e32 v49, v51, v68
	v_sub_f16_e32 v52, v0, v13
	v_add_f16_e32 v62, v13, v0
	v_add_f16_e32 v0, v38, v0
	;; [unrolled: 1-line block ×5, first 2 shown]
	v_fma_f16 v2, v44, v2, -v56
	v_fma_f16 v7, v48, v7, -v58
	v_add_f16_e32 v44, v77, v78
	v_fma_f16 v3, v43, v3, -v54
	v_fma_f16 v6, v45, v6, -v55
	v_add_f16_e32 v43, v79, v80
	v_fma_f16 v5, v42, v5, -v53
	v_sub_f16_e32 v41, v68, v63
	v_add_f16_e32 v49, v49, v70
	v_add_f16_e32 v0, v0, v1
	v_sub_f16_e32 v42, v70, v69
	v_sub_f16_e32 v45, v76, v75
	;; [unrolled: 1-line block ×4, first 2 shown]
	v_mul_f16_e32 v50, 0x3abb, v60
	v_mul_f16_e32 v53, 0x36a6, v47
	v_sub_f16_e32 v54, v1, v11
	v_mul_f16_e32 v55, 0xb08e, v12
	v_sub_f16_e32 v56, v2, v7
	;; [unrolled: 2-line block ×4, first 2 shown]
	v_mul_f16_e32 v64, 0xb853, v41
	v_add_f16_e32 v65, v11, v1
	v_mul_f16_e32 v73, 0x36a6, v60
	v_mul_f16_e32 v74, 0xb93d, v47
	;; [unrolled: 1-line block ×24, first 2 shown]
	v_add_f16_e32 v1, v49, v76
	v_add_f16_e32 v0, v0, v2
	v_mul_f16_e32 v66, 0xbb47, v42
	v_add_f16_e32 v67, v7, v2
	v_mul_f16_e32 v68, 0xbbeb, v45
	;; [unrolled: 2-line block ×3, first 2 shown]
	v_mul_f16_e32 v85, 0xba0c, v42
	v_mul_f16_e32 v86, 0x3482, v45
	;; [unrolled: 1-line block ×17, first 2 shown]
	v_add_f16_e32 v109, v5, v4
	v_fmamk_f16 v110, v52, 0x3853, v50
	v_fmamk_f16 v111, v54, 0x3b47, v53
	;; [unrolled: 1-line block ×12, first 2 shown]
	v_fma_f16 v128, 0x3beb, v52, v88
	v_fma_f16 v129, 0xb482, v54, v89
	;; [unrolled: 1-line block ×13, first 2 shown]
	v_fmac_f16_e32 v60, 0xb482, v52
	v_fmac_f16_e32 v97, 0xba0c, v52
	v_fmac_f16_e32 v88, 0xbbeb, v52
	v_fmac_f16_e32 v73, 0xbb47, v52
	v_fmac_f16_e32 v50, 0xb853, v52
	v_fmamk_f16 v52, v54, 0xb853, v47
	v_fmac_f16_e32 v47, 0x3853, v54
	v_fmac_f16_e32 v98, 0x3beb, v54
	v_fmac_f16_e32 v89, 0x3482, v54
	v_fmac_f16_e32 v74, 0xba0c, v54
	v_fmac_f16_e32 v53, 0xbb47, v54
	v_fmamk_f16 v54, v56, 0x3a0c, v12
	;; [unrolled: 6-line block ×5, first 2 shown]
	v_fma_f16 v41, v62, 0xbbad, -v41
	v_fma_f16 v102, v62, 0xb93d, -v102
	;; [unrolled: 1-line block ×5, first 2 shown]
	v_add_f16_e32 v1, v1, v78
	v_add_f16_e32 v0, v0, v3
	v_fmamk_f16 v116, v65, 0x36a6, v66
	v_fmamk_f16 v117, v67, 0xb08e, v68
	;; [unrolled: 1-line block ×6, first 2 shown]
	v_fma_f16 v134, 0xbbad, v65, v94
	v_fma_f16 v135, 0x36a6, v67, v95
	;; [unrolled: 1-line block ×6, first 2 shown]
	v_fmamk_f16 v64, v65, 0x3abb, v42
	v_fma_f16 v42, v65, 0x3abb, -v42
	v_fma_f16 v103, v65, 0xb08e, -v103
	v_fma_f16 v94, v65, 0xbbad, -v94
	v_fma_f16 v85, v65, 0xb93d, -v85
	v_fma_f16 v65, v65, 0x36a6, -v66
	v_fmamk_f16 v66, v67, 0xb93d, v45
	v_fma_f16 v45, v67, 0xb93d, -v45
	v_fma_f16 v104, v67, 0x3abb, -v104
	v_fma_f16 v95, v67, 0x36a6, -v95
	v_fma_f16 v86, v67, 0xbbad, -v86
	v_fma_f16 v67, v67, 0xb08e, -v68
	;; [unrolled: 6-line block ×3, first 2 shown]
	v_fmamk_f16 v72, v109, 0xb08e, v48
	v_fma_f16 v48, v109, 0xb08e, -v48
	v_fma_f16 v147, 0x36a6, v109, v108
	v_fma_f16 v108, v109, 0x36a6, -v108
	v_fma_f16 v148, 0xb93d, v109, v107
	;; [unrolled: 2-line block ×4, first 2 shown]
	v_fma_f16 v70, v109, 0xbbad, -v70
	v_add_f16_e32 v49, v51, v110
	v_add_f16_e32 v76, v51, v119
	v_add_f16_e64 v109, v51, v128
	v_add_f16_e64 v110, v51, v137
	;; [unrolled: 1-line block ×3, first 2 shown]
	v_add_f16_e32 v60, v51, v60
	v_add_f16_e32 v97, v51, v97
	;; [unrolled: 1-line block ×7, first 2 shown]
	v_add_f16_e64 v124, v38, v133
	v_add_f16_e64 v128, v38, v142
	v_add_f16_e32 v61, v38, v61
	v_add_f16_e32 v41, v38, v41
	;; [unrolled: 1-line block ×26, first 2 shown]
	v_add_f16_e64 v76, v109, v129
	v_add_f16_e64 v78, v124, v134
	;; [unrolled: 1-line block ×4, first 2 shown]
	v_add_f16_e32 v52, v52, v54
	v_add_f16_e32 v54, v61, v66
	;; [unrolled: 1-line block ×18, first 2 shown]
	v_add_f16_e64 v53, v76, v130
	v_add_f16_e64 v62, v78, v135
	v_add_f16_e64 v65, v109, v139
	v_add_f16_e64 v76, v110, v144
	v_add_f16_e32 v52, v52, v56
	v_add_f16_e32 v12, v12, v44
	;; [unrolled: 1-line block ×18, first 2 shown]
	v_add_f16_e64 v51, v53, v131
	v_add_f16_e64 v53, v62, v136
	;; [unrolled: 1-line block ×4, first 2 shown]
	v_add_f16_e32 v12, v12, v43
	v_add_f16_e32 v6, v44, v108
	;; [unrolled: 1-line block ×15, first 2 shown]
	v_add_f16_e64 v3, v3, v150
	v_add_f16_e32 v4, v4, v123
	v_add_f16_e64 v5, v49, v149
	v_add_f16_e64 v49, v51, v132
	;; [unrolled: 1-line block ×5, first 2 shown]
	v_pack_b32_f16 v7, v38, v45
	v_pack_b32_f16 v38, v47, v44
	v_add_f16_e32 v1, v63, v1
	v_add_f16_e32 v0, v13, v0
	v_pack_b32_f16 v43, v46, v43
	v_pack_b32_f16 v6, v6, v42
	;; [unrolled: 1-line block ×9, first 2 shown]
	s_clause 0xa
	global_store_b32 v[8:9], v38, off offset:672
	global_store_b32 v[8:9], v43, off offset:1008
	;; [unrolled: 1-line block ×7, first 2 shown]
	global_store_b32 v[8:9], v0, off
	global_store_b32 v[8:9], v41, off offset:2688
	global_store_b32 v[8:9], v4, off offset:3024
	;; [unrolled: 1-line block ×3, first 2 shown]
	s_and_b32 exec_lo, exec_lo, vcc_lo
	s_cbranch_execz .LBB0_34
; %bb.33:
	v_subrev_nc_u32_e32 v0, 40, v14
	v_mov_b32_e32 v9, 0
	s_delay_alu instid0(VALU_DEP_2) | instskip(NEXT) | instid1(VALU_DEP_1)
	v_cndmask_b32_e64 v0, v0, v16, s0
	v_mul_i32_i24_e32 v8, 10, v0
	s_delay_alu instid0(VALU_DEP_1) | instskip(SKIP_1) | instid1(VALU_DEP_1)
	v_lshlrev_b64_e32 v[0:1], 2, v[8:9]
	v_add_nc_u32_e32 v8, 0x80, v14
	v_lshlrev_b64_e32 v[41:42], 2, v[8:9]
	s_delay_alu instid0(VALU_DEP_3) | instskip(SKIP_1) | instid1(VALU_DEP_4)
	v_add_co_u32 v11, vcc_lo, s4, v0
	s_wait_alu 0xfffd
	v_add_co_ci_u32_e32 v12, vcc_lo, s5, v1, vcc_lo
	s_clause 0x2
	global_load_b128 v[0:3], v[11:12], off offset:328
	global_load_b128 v[4:7], v[11:12], off offset:344
	global_load_b64 v[12:13], v[11:12], off offset:360
	v_dual_mov_b32 v11, v9 :: v_dual_add_nc_u32 v8, 0xd4, v14
	s_delay_alu instid0(VALU_DEP_1) | instskip(NEXT) | instid1(VALU_DEP_2)
	v_lshlrev_b64_e32 v[10:11], 2, v[10:11]
	v_lshlrev_b64_e32 v[43:44], 2, v[8:9]
	v_add_nc_u32_e32 v8, 0x128, v14
	s_delay_alu instid0(VALU_DEP_3) | instskip(NEXT) | instid1(VALU_DEP_2)
	v_add_co_u32 v10, vcc_lo, v39, v10
	v_lshlrev_b64_e32 v[45:46], 2, v[8:9]
	v_add_nc_u32_e32 v8, 0x17c, v14
	s_wait_alu 0xfffd
	v_add_co_ci_u32_e32 v11, vcc_lo, v40, v11, vcc_lo
	v_add_co_u32 v41, vcc_lo, v39, v41
	s_delay_alu instid0(VALU_DEP_3) | instskip(SKIP_4) | instid1(VALU_DEP_3)
	v_lshlrev_b64_e32 v[47:48], 2, v[8:9]
	v_add_nc_u32_e32 v8, 0x1d0, v14
	s_wait_alu 0xfffd
	v_add_co_ci_u32_e32 v42, vcc_lo, v40, v42, vcc_lo
	v_add_co_u32 v43, vcc_lo, v39, v43
	v_lshlrev_b64_e32 v[49:50], 2, v[8:9]
	v_add_nc_u32_e32 v8, 0x224, v14
	s_wait_alu 0xfffd
	v_add_co_ci_u32_e32 v44, vcc_lo, v40, v44, vcc_lo
	v_add_co_u32 v45, vcc_lo, v39, v45
	s_delay_alu instid0(VALU_DEP_3) | instskip(SKIP_4) | instid1(VALU_DEP_3)
	v_lshlrev_b64_e32 v[51:52], 2, v[8:9]
	v_add_nc_u32_e32 v8, 0x278, v14
	s_wait_alu 0xfffd
	v_add_co_ci_u32_e32 v46, vcc_lo, v40, v46, vcc_lo
	;; [unrolled: 11-line block ×3, first 2 shown]
	v_add_co_u32 v51, vcc_lo, v39, v51
	v_lshlrev_b64_e32 v[57:58], 2, v[8:9]
	s_wait_alu 0xfffd
	v_add_co_ci_u32_e32 v52, vcc_lo, v40, v52, vcc_lo
	v_add_co_u32 v53, vcc_lo, v39, v53
	s_wait_alu 0xfffd
	v_add_co_ci_u32_e32 v54, vcc_lo, v40, v54, vcc_lo
	s_wait_loadcnt 0x2
	v_lshrrev_b32_e32 v8, 16, v0
	v_lshrrev_b32_e32 v16, 16, v1
	;; [unrolled: 1-line block ×4, first 2 shown]
	s_wait_loadcnt 0x1
	v_lshrrev_b32_e32 v60, 16, v4
	v_lshrrev_b32_e32 v61, 16, v5
	;; [unrolled: 1-line block ×4, first 2 shown]
	s_wait_loadcnt 0x0
	v_lshrrev_b32_e32 v64, 16, v12
	v_lshrrev_b32_e32 v65, 16, v13
	v_mul_f16_e32 v66, v36, v8
	v_mul_f16_e32 v8, v27, v8
	;; [unrolled: 1-line block ×20, first 2 shown]
	v_fma_f16 v27, v27, v0, -v66
	v_fmac_f16_e32 v8, v36, v0
	v_fma_f16 v0, v28, v1, -v67
	v_fmac_f16_e32 v16, v37, v1
	;; [unrolled: 2-line block ×8, first 2 shown]
	v_fma_f16 v7, v26, v12, -v74
	v_fma_f16 v15, v15, v13, -v75
	v_fmac_f16_e32 v65, v17, v13
	v_fmac_f16_e32 v64, v30, v12
	v_add_f16_e32 v12, v18, v27
	v_add_f16_e32 v13, v20, v8
	v_sub_f16_e32 v21, v27, v15
	v_add_f16_e32 v19, v8, v65
	v_sub_f16_e32 v8, v8, v65
	v_add_f16_e32 v22, v0, v7
	v_sub_f16_e32 v24, v0, v7
	v_add_f16_e32 v0, v12, v0
	v_add_f16_e32 v12, v13, v16
	;; [unrolled: 1-line block ×4, first 2 shown]
	v_sub_f16_e32 v25, v16, v64
	v_add_f16_e32 v26, v1, v6
	v_sub_f16_e32 v28, v1, v6
	v_mul_f16_e32 v13, 0xb853, v8
	v_mul_f16_e32 v16, 0xb853, v21
	;; [unrolled: 1-line block ×10, first 2 shown]
	v_add_f16_e32 v0, v0, v1
	v_add_f16_e32 v1, v12, v38
	v_sub_f16_e32 v29, v38, v63
	v_sub_f16_e32 v32, v2, v5
	;; [unrolled: 1-line block ×5, first 2 shown]
	v_mul_f16_e32 v72, 0xbb47, v25
	v_mul_f16_e32 v73, 0xbb47, v24
	;; [unrolled: 1-line block ×10, first 2 shown]
	v_fma_f16 v12, v17, 0x3abb, -v13
	v_fmac_f16_e32 v13, 0x3abb, v17
	v_fma_f16 v104, v17, 0x36a6, -v66
	v_fmac_f16_e32 v66, 0x36a6, v17
	v_fma_f16 v106, v17, 0xb08e, -v68
	v_fmac_f16_e32 v68, 0xb08e, v17
	v_fma_f16 v108, v17, 0xb93d, -v70
	v_fmac_f16_e32 v70, 0xb93d, v17
	v_fma_f16 v110, v17, 0xbbad, -v8
	v_fmac_f16_e32 v8, 0xbbad, v17
	v_fma_f16 v17, v19, 0xbbad, -v21
	v_add_f16_e32 v0, v0, v2
	v_add_f16_e32 v1, v1, v59
	;; [unrolled: 1-line block ×7, first 2 shown]
	v_mul_f16_e32 v80, 0xbbeb, v29
	v_mul_f16_e32 v81, 0xbbeb, v28
	;; [unrolled: 1-line block ×30, first 2 shown]
	v_fmamk_f16 v38, v19, 0x3abb, v16
	v_fma_f16 v16, v19, 0x3abb, -v16
	v_fmamk_f16 v105, v19, 0x36a6, v67
	v_fma_f16 v67, v19, 0x36a6, -v67
	;; [unrolled: 2-line block ×5, first 2 shown]
	v_fmac_f16_e32 v72, 0x36a6, v22
	v_fma_f16 v112, v22, 0xb93d, -v74
	v_fmac_f16_e32 v74, 0xb93d, v22
	v_fma_f16 v114, v22, 0xbbad, -v76
	;; [unrolled: 2-line block ×5, first 2 shown]
	v_add_f16_e32 v8, v18, v8
	v_add_f16_e32 v17, v20, v17
	;; [unrolled: 1-line block ×4, first 2 shown]
	v_fmamk_f16 v21, v23, 0x36a6, v73
	v_fma_f16 v73, v23, 0x36a6, -v73
	v_fmamk_f16 v113, v23, 0xb93d, v75
	v_fma_f16 v75, v23, 0xb93d, -v75
	;; [unrolled: 2-line block ×5, first 2 shown]
	v_fmamk_f16 v24, v27, 0xb08e, v81
	v_fmac_f16_e32 v80, 0xb08e, v26
	v_fma_f16 v81, v27, 0xb08e, -v81
	v_fma_f16 v120, v26, 0xbbad, -v82
	v_fmamk_f16 v121, v27, 0xbbad, v83
	v_fmac_f16_e32 v82, 0xbbad, v26
	v_fma_f16 v83, v27, 0xbbad, -v83
	v_fma_f16 v122, v26, 0x36a6, -v84
	;; [unrolled: 4-line block ×6, first 2 shown]
	v_fma_f16 v129, 0xb08e, v31, v91
	v_fmac_f16_e32 v90, 0xb08e, v30
	v_fma_f16 v91, v31, 0xb08e, -v91
	v_fma_f16 v130, v30, 0x3abb, -v92
	v_fma_f16 v131, 0x3abb, v31, v93
	v_fmac_f16_e32 v92, 0x3abb, v30
	v_fma_f16 v93, v31, 0x3abb, -v93
	v_fma_f16 v132, v30, 0xbbad, -v94
	v_fma_f16 v133, 0xbbad, v31, v95
	v_fmac_f16_e32 v94, 0xbbad, v30
	v_fma_f16 v95, v31, 0xbbad, -v95
	v_fma_f16 v134, v30, 0x36a6, -v33
	v_fma_f16 v135, 0x36a6, v31, v32
	v_fmac_f16_e32 v33, 0x36a6, v30
	v_fma_f16 v30, v31, 0x36a6, -v32
	v_fma_f16 v31, v34, 0xbbad, -v96
	v_fmamk_f16 v32, v35, 0xbbad, v97
	v_fmac_f16_e32 v96, 0xbbad, v34
	v_fma_f16 v97, v35, 0xbbad, -v97
	v_fma_f16 v136, v34, 0x3abb, -v98
	v_fma_f16 v137, 0x3abb, v35, v99
	v_fmac_f16_e32 v98, 0x3abb, v34
	v_fma_f16 v99, v35, 0x3abb, -v99
	v_fma_f16 v138, v34, 0xb93d, -v100
	v_fma_f16 v139, 0xb93d, v35, v101
	;; [unrolled: 4-line block ×4, first 2 shown]
	v_fmac_f16_e32 v37, 0xb08e, v34
	v_fma_f16 v34, v35, 0xb08e, -v36
	v_add_f16_e32 v2, v18, v12
	v_add_f16_e32 v12, v20, v38
	;; [unrolled: 1-line block ×66, first 2 shown]
	v_add_f16_e64 v12, v128, v13
	v_add_f16_e64 v13, v129, v16
	v_add_f16_e32 v16, v90, v18
	v_add_f16_e32 v18, v91, v19
	v_add_f16_e64 v19, v130, v20
	v_add_f16_e64 v20, v131, v21
	v_add_f16_e32 v21, v92, v22
	v_add_f16_e32 v22, v93, v23
	;; [unrolled: 4-line block ×3, first 2 shown]
	v_add_f16_e32 v0, v0, v7
	v_add_f16_e32 v1, v1, v64
	;; [unrolled: 1-line block ×10, first 2 shown]
	v_add_f16_e64 v4, v136, v12
	v_add_f16_e64 v5, v137, v13
	v_add_f16_e32 v12, v98, v16
	v_add_f16_e32 v13, v99, v18
	v_add_f16_e64 v16, v138, v19
	v_add_f16_e64 v18, v139, v20
	v_add_f16_e32 v19, v100, v21
	v_add_f16_e32 v20, v101, v22
	;; [unrolled: 4-line block ×3, first 2 shown]
	v_pack_b32_f16 v17, v8, v17
	v_add_nc_u32_e32 v8, 0x374, v14
	v_add_f16_e32 v25, v94, v35
	v_add_f16_e32 v26, v95, v36
	v_add_f16_e64 v27, v134, v38
	v_add_f16_e64 v28, v135, v59
	v_pack_b32_f16 v7, v2, v3
	v_pack_b32_f16 v15, v21, v22
	;; [unrolled: 1-line block ×3, first 2 shown]
	v_add_co_u32 v0, vcc_lo, v39, v55
	v_lshlrev_b64_e32 v[2:3], 2, v[8:9]
	s_wait_alu 0xfffd
	v_add_co_ci_u32_e32 v1, vcc_lo, v40, v56, vcc_lo
	v_add_f16_e32 v23, v102, v25
	v_add_f16_e32 v24, v103, v26
	v_add_f16_e64 v25, v142, v27
	v_add_f16_e64 v26, v143, v28
	v_pack_b32_f16 v27, v4, v5
	v_add_co_u32 v4, vcc_lo, v39, v57
	s_wait_alu 0xfffd
	v_add_co_ci_u32_e32 v5, vcc_lo, v40, v58, vcc_lo
	v_pack_b32_f16 v16, v16, v18
	v_add_co_u32 v2, vcc_lo, v39, v2
	v_pack_b32_f16 v18, v25, v26
	v_pack_b32_f16 v21, v23, v24
	;; [unrolled: 1-line block ×4, first 2 shown]
	s_wait_alu 0xfffd
	v_add_co_ci_u32_e32 v3, vcc_lo, v40, v3, vcc_lo
	v_pack_b32_f16 v6, v6, v29
	s_clause 0xa
	global_store_b32 v[10:11], v22, off
	global_store_b32 v[41:42], v7, off
	;; [unrolled: 1-line block ×11, first 2 shown]
.LBB0_34:
	s_nop 0
	s_sendmsg sendmsg(MSG_DEALLOC_VGPRS)
	s_endpgm
	.section	.rodata,"a",@progbits
	.p2align	6, 0x0
	.amdhsa_kernel fft_rtc_fwd_len924_factors_2_2_3_7_11_wgs_44_tpt_44_halfLds_half_op_CI_CI_unitstride_sbrr_dirReg
		.amdhsa_group_segment_fixed_size 0
		.amdhsa_private_segment_fixed_size 0
		.amdhsa_kernarg_size 104
		.amdhsa_user_sgpr_count 2
		.amdhsa_user_sgpr_dispatch_ptr 0
		.amdhsa_user_sgpr_queue_ptr 0
		.amdhsa_user_sgpr_kernarg_segment_ptr 1
		.amdhsa_user_sgpr_dispatch_id 0
		.amdhsa_user_sgpr_private_segment_size 0
		.amdhsa_wavefront_size32 1
		.amdhsa_uses_dynamic_stack 0
		.amdhsa_enable_private_segment 0
		.amdhsa_system_sgpr_workgroup_id_x 1
		.amdhsa_system_sgpr_workgroup_id_y 0
		.amdhsa_system_sgpr_workgroup_id_z 0
		.amdhsa_system_sgpr_workgroup_info 0
		.amdhsa_system_vgpr_workitem_id 0
		.amdhsa_next_free_vgpr 151
		.amdhsa_next_free_sgpr 39
		.amdhsa_reserve_vcc 1
		.amdhsa_float_round_mode_32 0
		.amdhsa_float_round_mode_16_64 0
		.amdhsa_float_denorm_mode_32 3
		.amdhsa_float_denorm_mode_16_64 3
		.amdhsa_fp16_overflow 0
		.amdhsa_workgroup_processor_mode 1
		.amdhsa_memory_ordered 1
		.amdhsa_forward_progress 0
		.amdhsa_round_robin_scheduling 0
		.amdhsa_exception_fp_ieee_invalid_op 0
		.amdhsa_exception_fp_denorm_src 0
		.amdhsa_exception_fp_ieee_div_zero 0
		.amdhsa_exception_fp_ieee_overflow 0
		.amdhsa_exception_fp_ieee_underflow 0
		.amdhsa_exception_fp_ieee_inexact 0
		.amdhsa_exception_int_div_zero 0
	.end_amdhsa_kernel
	.text
.Lfunc_end0:
	.size	fft_rtc_fwd_len924_factors_2_2_3_7_11_wgs_44_tpt_44_halfLds_half_op_CI_CI_unitstride_sbrr_dirReg, .Lfunc_end0-fft_rtc_fwd_len924_factors_2_2_3_7_11_wgs_44_tpt_44_halfLds_half_op_CI_CI_unitstride_sbrr_dirReg
                                        ; -- End function
	.section	.AMDGPU.csdata,"",@progbits
; Kernel info:
; codeLenInByte = 15448
; NumSgprs: 41
; NumVgprs: 151
; ScratchSize: 0
; MemoryBound: 0
; FloatMode: 240
; IeeeMode: 1
; LDSByteSize: 0 bytes/workgroup (compile time only)
; SGPRBlocks: 5
; VGPRBlocks: 18
; NumSGPRsForWavesPerEU: 41
; NumVGPRsForWavesPerEU: 151
; Occupancy: 9
; WaveLimiterHint : 1
; COMPUTE_PGM_RSRC2:SCRATCH_EN: 0
; COMPUTE_PGM_RSRC2:USER_SGPR: 2
; COMPUTE_PGM_RSRC2:TRAP_HANDLER: 0
; COMPUTE_PGM_RSRC2:TGID_X_EN: 1
; COMPUTE_PGM_RSRC2:TGID_Y_EN: 0
; COMPUTE_PGM_RSRC2:TGID_Z_EN: 0
; COMPUTE_PGM_RSRC2:TIDIG_COMP_CNT: 0
	.text
	.p2alignl 7, 3214868480
	.fill 96, 4, 3214868480
	.type	__hip_cuid_a20acb9df1325345,@object ; @__hip_cuid_a20acb9df1325345
	.section	.bss,"aw",@nobits
	.globl	__hip_cuid_a20acb9df1325345
__hip_cuid_a20acb9df1325345:
	.byte	0                               ; 0x0
	.size	__hip_cuid_a20acb9df1325345, 1

	.ident	"AMD clang version 19.0.0git (https://github.com/RadeonOpenCompute/llvm-project roc-6.4.0 25133 c7fe45cf4b819c5991fe208aaa96edf142730f1d)"
	.section	".note.GNU-stack","",@progbits
	.addrsig
	.addrsig_sym __hip_cuid_a20acb9df1325345
	.amdgpu_metadata
---
amdhsa.kernels:
  - .args:
      - .actual_access:  read_only
        .address_space:  global
        .offset:         0
        .size:           8
        .value_kind:     global_buffer
      - .offset:         8
        .size:           8
        .value_kind:     by_value
      - .actual_access:  read_only
        .address_space:  global
        .offset:         16
        .size:           8
        .value_kind:     global_buffer
      - .actual_access:  read_only
        .address_space:  global
        .offset:         24
        .size:           8
        .value_kind:     global_buffer
      - .actual_access:  read_only
        .address_space:  global
        .offset:         32
        .size:           8
        .value_kind:     global_buffer
      - .offset:         40
        .size:           8
        .value_kind:     by_value
      - .actual_access:  read_only
        .address_space:  global
        .offset:         48
        .size:           8
        .value_kind:     global_buffer
      - .actual_access:  read_only
        .address_space:  global
        .offset:         56
        .size:           8
        .value_kind:     global_buffer
      - .offset:         64
        .size:           4
        .value_kind:     by_value
      - .actual_access:  read_only
        .address_space:  global
        .offset:         72
        .size:           8
        .value_kind:     global_buffer
      - .actual_access:  read_only
        .address_space:  global
        .offset:         80
        .size:           8
        .value_kind:     global_buffer
      - .actual_access:  read_only
        .address_space:  global
        .offset:         88
        .size:           8
        .value_kind:     global_buffer
      - .actual_access:  write_only
        .address_space:  global
        .offset:         96
        .size:           8
        .value_kind:     global_buffer
    .group_segment_fixed_size: 0
    .kernarg_segment_align: 8
    .kernarg_segment_size: 104
    .language:       OpenCL C
    .language_version:
      - 2
      - 0
    .max_flat_workgroup_size: 44
    .name:           fft_rtc_fwd_len924_factors_2_2_3_7_11_wgs_44_tpt_44_halfLds_half_op_CI_CI_unitstride_sbrr_dirReg
    .private_segment_fixed_size: 0
    .sgpr_count:     41
    .sgpr_spill_count: 0
    .symbol:         fft_rtc_fwd_len924_factors_2_2_3_7_11_wgs_44_tpt_44_halfLds_half_op_CI_CI_unitstride_sbrr_dirReg.kd
    .uniform_work_group_size: 1
    .uses_dynamic_stack: false
    .vgpr_count:     151
    .vgpr_spill_count: 0
    .wavefront_size: 32
    .workgroup_processor_mode: 1
amdhsa.target:   amdgcn-amd-amdhsa--gfx1201
amdhsa.version:
  - 1
  - 2
...

	.end_amdgpu_metadata
